;; amdgpu-corpus repo=LLNL/RAJAPerf kind=compiled arch=gfx1100 opt=O3
	.text
	.amdgcn_target "amdgcn-amd-amdhsa--gfx1100"
	.amdhsa_code_object_version 6
	.section	.text._ZN8rajaperf4apps5vol3dILm256EEEvPdS2_S2_S2_S2_S2_S2_S2_S2_S2_S2_S2_S2_S2_S2_S2_S2_S2_S2_S2_S2_S2_S2_S2_S2_dll,"axG",@progbits,_ZN8rajaperf4apps5vol3dILm256EEEvPdS2_S2_S2_S2_S2_S2_S2_S2_S2_S2_S2_S2_S2_S2_S2_S2_S2_S2_S2_S2_S2_S2_S2_S2_dll,comdat
	.protected	_ZN8rajaperf4apps5vol3dILm256EEEvPdS2_S2_S2_S2_S2_S2_S2_S2_S2_S2_S2_S2_S2_S2_S2_S2_S2_S2_S2_S2_S2_S2_S2_S2_dll ; -- Begin function _ZN8rajaperf4apps5vol3dILm256EEEvPdS2_S2_S2_S2_S2_S2_S2_S2_S2_S2_S2_S2_S2_S2_S2_S2_S2_S2_S2_S2_S2_S2_S2_S2_dll
	.globl	_ZN8rajaperf4apps5vol3dILm256EEEvPdS2_S2_S2_S2_S2_S2_S2_S2_S2_S2_S2_S2_S2_S2_S2_S2_S2_S2_S2_S2_S2_S2_S2_S2_dll
	.p2align	8
	.type	_ZN8rajaperf4apps5vol3dILm256EEEvPdS2_S2_S2_S2_S2_S2_S2_S2_S2_S2_S2_S2_S2_S2_S2_S2_S2_S2_S2_S2_S2_S2_S2_S2_dll,@function
_ZN8rajaperf4apps5vol3dILm256EEEvPdS2_S2_S2_S2_S2_S2_S2_S2_S2_S2_S2_S2_S2_S2_S2_S2_S2_S2_S2_S2_S2_S2_S2_S2_dll: ; @_ZN8rajaperf4apps5vol3dILm256EEEvPdS2_S2_S2_S2_S2_S2_S2_S2_S2_S2_S2_S2_S2_S2_S2_S2_S2_S2_S2_S2_S2_S2_S2_S2_dll
; %bb.0:
	s_load_b256 s[20:27], s[0:1], 0xc0
	s_mov_b32 s2, s15
	s_mov_b32 s3, 0
	s_delay_alu instid0(SALU_CYCLE_1) | instskip(SKIP_4) | instid1(VALU_DEP_1)
	s_lshl_b64 s[2:3], s[2:3], 8
	s_waitcnt lgkmcnt(0)
	s_add_u32 s2, s24, s2
	s_addc_u32 s3, s25, s3
	v_add_co_u32 v0, s2, s2, v0
	v_add_co_ci_u32_e64 v1, null, s3, 0, s2
	s_mov_b32 s2, exec_lo
	s_delay_alu instid0(VALU_DEP_1)
	v_cmpx_gt_i64_e64 s[26:27], v[0:1]
	s_cbranch_execz .LBB0_2
; %bb.1:
	s_clause 0x1
	s_load_b512 s[36:51], s[0:1], 0x40
	s_load_b512 s[4:19], s[0:1], 0x0
	v_lshlrev_b64 v[0:1], 3, v[0:1]
	s_load_b512 s[52:67], s[0:1], 0x80
	s_waitcnt lgkmcnt(0)
	s_delay_alu instid0(VALU_DEP_1) | instskip(NEXT) | instid1(VALU_DEP_2)
	v_add_co_u32 v2, vcc_lo, s36, v0
	v_add_co_ci_u32_e32 v3, vcc_lo, s37, v1, vcc_lo
	v_add_co_u32 v4, vcc_lo, s8, v0
	v_add_co_ci_u32_e32 v5, vcc_lo, s9, v1, vcc_lo
	;; [unrolled: 2-line block ×13, first 2 shown]
	global_load_b64 v[2:3], v[2:3], off
	global_load_b64 v[4:5], v[4:5], off
	;; [unrolled: 1-line block ×10, first 2 shown]
	v_add_co_u32 v28, vcc_lo, s44, v0
	v_add_co_ci_u32_e32 v29, vcc_lo, s45, v1, vcc_lo
	v_add_co_u32 v30, vcc_lo, s38, v0
	v_add_co_ci_u32_e32 v31, vcc_lo, s39, v1, vcc_lo
	;; [unrolled: 2-line block ×8, first 2 shown]
	global_load_b64 v[16:17], v[16:17], off
	global_load_b64 v[18:19], v[18:19], off
	;; [unrolled: 1-line block ×11, first 2 shown]
	v_add_co_u32 v44, vcc_lo, s16, v0
	v_add_co_ci_u32_e32 v45, vcc_lo, s17, v1, vcc_lo
	v_add_co_u32 v46, vcc_lo, s46, v0
	v_add_co_ci_u32_e32 v47, vcc_lo, s47, v1, vcc_lo
	;; [unrolled: 2-line block ×3, first 2 shown]
	global_load_b64 v[44:45], v[44:45], off
	global_load_b64 v[46:47], v[46:47], off
	global_load_b64 v[48:49], v[48:49], off
	v_add_co_u32 v0, vcc_lo, s4, v0
	v_add_co_ci_u32_e32 v1, vcc_lo, s5, v1, vcc_lo
	s_waitcnt vmcnt(21)
	v_add_f64 v[6:7], v[2:3], -v[6:7]
	s_waitcnt vmcnt(20)
	v_add_f64 v[8:9], v[2:3], -v[8:9]
	;; [unrolled: 2-line block ×4, first 2 shown]
	v_add_f64 v[2:3], v[2:3], -v[4:5]
	v_add_f64 v[4:5], v[10:11], -v[12:13]
	;; [unrolled: 1-line block ×3, first 2 shown]
	s_waitcnt vmcnt(12)
	v_add_f64 v[14:15], v[16:17], -v[18:19]
	s_waitcnt vmcnt(11)
	v_add_f64 v[18:19], v[16:17], -v[20:21]
	s_waitcnt vmcnt(9)
	v_add_f64 v[20:21], v[28:29], -v[30:31]
	s_waitcnt vmcnt(8)
	v_add_f64 v[28:29], v[32:33], -v[30:31]
	s_waitcnt vmcnt(6)
	v_add_f64 v[32:33], v[34:35], -v[36:37]
	s_waitcnt vmcnt(5)
	v_add_f64 v[30:31], v[38:39], -v[30:31]
	s_waitcnt vmcnt(4)
	v_add_f64 v[36:37], v[34:35], -v[40:41]
	v_mul_f64 v[38:39], v[6:7], v[22:23]
	v_mul_f64 v[40:41], v[8:9], v[26:27]
	s_waitcnt vmcnt(3)
	v_add_f64 v[24:25], v[42:43], -v[24:25]
	v_add_f64 v[52:53], v[2:3], v[10:11]
	s_waitcnt vmcnt(2)
	v_add_f64 v[12:13], v[44:45], -v[12:13]
	s_waitcnt vmcnt(1)
	v_add_f64 v[16:17], v[16:17], -v[46:47]
	;; [unrolled: 2-line block ×3, first 2 shown]
	v_mul_f64 v[54:55], v[4:5], v[18:19]
	v_add_f64 v[42:43], v[14:15], v[28:29]
	v_mul_f64 v[44:45], v[20:21], v[32:33]
	v_add_f64 v[46:47], v[18:19], v[30:31]
	v_mul_f64 v[48:49], v[28:29], v[36:37]
	v_fma_f64 v[38:39], v[4:5], v[32:33], -v[38:39]
	v_fma_f64 v[40:41], v[10:11], v[36:37], -v[40:41]
	v_mul_f64 v[50:51], v[2:3], v[24:25]
	v_add_f64 v[32:33], v[32:33], v[24:25]
	v_add_f64 v[4:5], v[8:9], v[4:5]
	;; [unrolled: 1-line block ×3, first 2 shown]
	v_mul_f64 v[10:11], v[10:11], v[16:17]
	v_add_f64 v[58:59], v[16:17], v[20:21]
	v_mul_f64 v[60:61], v[30:31], v[34:35]
	v_fma_f64 v[6:7], v[6:7], v[20:21], -v[54:55]
	v_add_f64 v[20:21], v[36:37], v[22:23]
	v_fma_f64 v[18:19], v[18:19], v[22:23], -v[44:45]
	v_fma_f64 v[16:17], v[16:17], v[26:27], -v[48:49]
	v_mul_f64 v[38:39], v[42:43], v[38:39]
	v_mul_f64 v[40:41], v[46:47], v[40:41]
	v_fma_f64 v[42:43], v[12:13], v[34:35], -v[50:51]
	v_add_f64 v[26:27], v[34:35], v[26:27]
	v_mul_f64 v[12:13], v[12:13], v[14:15]
	v_fma_f64 v[8:9], v[8:9], v[28:29], -v[10:11]
	v_fma_f64 v[10:11], v[14:15], v[24:25], -v[60:61]
	v_fma_f64 v[14:15], v[52:53], v[18:19], v[38:39]
	v_fma_f64 v[16:17], v[56:57], v[16:17], v[40:41]
	v_mul_f64 v[18:19], v[58:59], v[42:43]
	v_fma_f64 v[2:3], v[2:3], v[30:31], -v[12:13]
	s_delay_alu instid0(VALU_DEP_4) | instskip(NEXT) | instid1(VALU_DEP_4)
	v_fma_f64 v[6:7], v[6:7], v[26:27], v[14:15]
	v_fma_f64 v[8:9], v[8:9], v[32:33], v[16:17]
	s_delay_alu instid0(VALU_DEP_4) | instskip(NEXT) | instid1(VALU_DEP_2)
	v_fma_f64 v[4:5], v[4:5], v[10:11], v[18:19]
	v_add_f64 v[6:7], v[6:7], v[8:9]
	s_delay_alu instid0(VALU_DEP_2) | instskip(NEXT) | instid1(VALU_DEP_1)
	v_fma_f64 v[2:3], v[2:3], v[20:21], v[4:5]
	v_add_f64 v[2:3], v[2:3], v[6:7]
	s_delay_alu instid0(VALU_DEP_1)
	v_mul_f64 v[2:3], v[2:3], s[22:23]
	global_store_b64 v[0:1], v[2:3], off
.LBB0_2:
	s_nop 0
	s_sendmsg sendmsg(MSG_DEALLOC_VGPRS)
	s_endpgm
	.section	.rodata,"a",@progbits
	.p2align	6, 0x0
	.amdhsa_kernel _ZN8rajaperf4apps5vol3dILm256EEEvPdS2_S2_S2_S2_S2_S2_S2_S2_S2_S2_S2_S2_S2_S2_S2_S2_S2_S2_S2_S2_S2_S2_S2_S2_dll
		.amdhsa_group_segment_fixed_size 0
		.amdhsa_private_segment_fixed_size 0
		.amdhsa_kernarg_size 224
		.amdhsa_user_sgpr_count 15
		.amdhsa_user_sgpr_dispatch_ptr 0
		.amdhsa_user_sgpr_queue_ptr 0
		.amdhsa_user_sgpr_kernarg_segment_ptr 1
		.amdhsa_user_sgpr_dispatch_id 0
		.amdhsa_user_sgpr_private_segment_size 0
		.amdhsa_wavefront_size32 1
		.amdhsa_uses_dynamic_stack 0
		.amdhsa_enable_private_segment 0
		.amdhsa_system_sgpr_workgroup_id_x 1
		.amdhsa_system_sgpr_workgroup_id_y 0
		.amdhsa_system_sgpr_workgroup_id_z 0
		.amdhsa_system_sgpr_workgroup_info 0
		.amdhsa_system_vgpr_workitem_id 0
		.amdhsa_next_free_vgpr 62
		.amdhsa_next_free_sgpr 68
		.amdhsa_reserve_vcc 1
		.amdhsa_float_round_mode_32 0
		.amdhsa_float_round_mode_16_64 0
		.amdhsa_float_denorm_mode_32 3
		.amdhsa_float_denorm_mode_16_64 3
		.amdhsa_dx10_clamp 1
		.amdhsa_ieee_mode 1
		.amdhsa_fp16_overflow 0
		.amdhsa_workgroup_processor_mode 1
		.amdhsa_memory_ordered 1
		.amdhsa_forward_progress 0
		.amdhsa_shared_vgpr_count 0
		.amdhsa_exception_fp_ieee_invalid_op 0
		.amdhsa_exception_fp_denorm_src 0
		.amdhsa_exception_fp_ieee_div_zero 0
		.amdhsa_exception_fp_ieee_overflow 0
		.amdhsa_exception_fp_ieee_underflow 0
		.amdhsa_exception_fp_ieee_inexact 0
		.amdhsa_exception_int_div_zero 0
	.end_amdhsa_kernel
	.section	.text._ZN8rajaperf4apps5vol3dILm256EEEvPdS2_S2_S2_S2_S2_S2_S2_S2_S2_S2_S2_S2_S2_S2_S2_S2_S2_S2_S2_S2_S2_S2_S2_S2_dll,"axG",@progbits,_ZN8rajaperf4apps5vol3dILm256EEEvPdS2_S2_S2_S2_S2_S2_S2_S2_S2_S2_S2_S2_S2_S2_S2_S2_S2_S2_S2_S2_S2_S2_S2_S2_dll,comdat
.Lfunc_end0:
	.size	_ZN8rajaperf4apps5vol3dILm256EEEvPdS2_S2_S2_S2_S2_S2_S2_S2_S2_S2_S2_S2_S2_S2_S2_S2_S2_S2_S2_S2_S2_S2_S2_S2_dll, .Lfunc_end0-_ZN8rajaperf4apps5vol3dILm256EEEvPdS2_S2_S2_S2_S2_S2_S2_S2_S2_S2_S2_S2_S2_S2_S2_S2_S2_S2_S2_S2_S2_S2_S2_S2_dll
                                        ; -- End function
	.section	.AMDGPU.csdata,"",@progbits
; Kernel info:
; codeLenInByte = 1160
; NumSgprs: 70
; NumVgprs: 62
; ScratchSize: 0
; MemoryBound: 0
; FloatMode: 240
; IeeeMode: 1
; LDSByteSize: 0 bytes/workgroup (compile time only)
; SGPRBlocks: 8
; VGPRBlocks: 7
; NumSGPRsForWavesPerEU: 70
; NumVGPRsForWavesPerEU: 62
; Occupancy: 16
; WaveLimiterHint : 0
; COMPUTE_PGM_RSRC2:SCRATCH_EN: 0
; COMPUTE_PGM_RSRC2:USER_SGPR: 15
; COMPUTE_PGM_RSRC2:TRAP_HANDLER: 0
; COMPUTE_PGM_RSRC2:TGID_X_EN: 1
; COMPUTE_PGM_RSRC2:TGID_Y_EN: 0
; COMPUTE_PGM_RSRC2:TGID_Z_EN: 0
; COMPUTE_PGM_RSRC2:TIDIG_COMP_CNT: 0
	.section	.text._ZN4RAJA6policy3hip4impl18forallp_hip_kernelINS1_8hip_execINS_17iteration_mapping6DirectENS_3hip11IndexGlobalILNS_9named_dimE0ELi256ELi0EEENS7_40AvoidDeviceMaxThreadOccupancyConcretizerINS7_34FractionOffsetOccupancyConcretizerINS_8FractionImLm1ELm1EEELln1EEEEELb1EEENS_9Iterators16numeric_iteratorIllPlEEZN8rajaperf4apps5VOL3D17runHipVariantImplILm256EEEvNSM_9VariantIDEEUllE_lNS_4expt15ForallParamPackIJEEES6_SA_TnNSt9enable_ifIXaasr3std10is_base_ofINS5_10DirectBaseET4_EE5valuegtsrT5_10block_sizeLi0EEmE4typeELm256EEEvT1_T0_T2_T3_,"axG",@progbits,_ZN4RAJA6policy3hip4impl18forallp_hip_kernelINS1_8hip_execINS_17iteration_mapping6DirectENS_3hip11IndexGlobalILNS_9named_dimE0ELi256ELi0EEENS7_40AvoidDeviceMaxThreadOccupancyConcretizerINS7_34FractionOffsetOccupancyConcretizerINS_8FractionImLm1ELm1EEELln1EEEEELb1EEENS_9Iterators16numeric_iteratorIllPlEEZN8rajaperf4apps5VOL3D17runHipVariantImplILm256EEEvNSM_9VariantIDEEUllE_lNS_4expt15ForallParamPackIJEEES6_SA_TnNSt9enable_ifIXaasr3std10is_base_ofINS5_10DirectBaseET4_EE5valuegtsrT5_10block_sizeLi0EEmE4typeELm256EEEvT1_T0_T2_T3_,comdat
	.protected	_ZN4RAJA6policy3hip4impl18forallp_hip_kernelINS1_8hip_execINS_17iteration_mapping6DirectENS_3hip11IndexGlobalILNS_9named_dimE0ELi256ELi0EEENS7_40AvoidDeviceMaxThreadOccupancyConcretizerINS7_34FractionOffsetOccupancyConcretizerINS_8FractionImLm1ELm1EEELln1EEEEELb1EEENS_9Iterators16numeric_iteratorIllPlEEZN8rajaperf4apps5VOL3D17runHipVariantImplILm256EEEvNSM_9VariantIDEEUllE_lNS_4expt15ForallParamPackIJEEES6_SA_TnNSt9enable_ifIXaasr3std10is_base_ofINS5_10DirectBaseET4_EE5valuegtsrT5_10block_sizeLi0EEmE4typeELm256EEEvT1_T0_T2_T3_ ; -- Begin function _ZN4RAJA6policy3hip4impl18forallp_hip_kernelINS1_8hip_execINS_17iteration_mapping6DirectENS_3hip11IndexGlobalILNS_9named_dimE0ELi256ELi0EEENS7_40AvoidDeviceMaxThreadOccupancyConcretizerINS7_34FractionOffsetOccupancyConcretizerINS_8FractionImLm1ELm1EEELln1EEEEELb1EEENS_9Iterators16numeric_iteratorIllPlEEZN8rajaperf4apps5VOL3D17runHipVariantImplILm256EEEvNSM_9VariantIDEEUllE_lNS_4expt15ForallParamPackIJEEES6_SA_TnNSt9enable_ifIXaasr3std10is_base_ofINS5_10DirectBaseET4_EE5valuegtsrT5_10block_sizeLi0EEmE4typeELm256EEEvT1_T0_T2_T3_
	.globl	_ZN4RAJA6policy3hip4impl18forallp_hip_kernelINS1_8hip_execINS_17iteration_mapping6DirectENS_3hip11IndexGlobalILNS_9named_dimE0ELi256ELi0EEENS7_40AvoidDeviceMaxThreadOccupancyConcretizerINS7_34FractionOffsetOccupancyConcretizerINS_8FractionImLm1ELm1EEELln1EEEEELb1EEENS_9Iterators16numeric_iteratorIllPlEEZN8rajaperf4apps5VOL3D17runHipVariantImplILm256EEEvNSM_9VariantIDEEUllE_lNS_4expt15ForallParamPackIJEEES6_SA_TnNSt9enable_ifIXaasr3std10is_base_ofINS5_10DirectBaseET4_EE5valuegtsrT5_10block_sizeLi0EEmE4typeELm256EEEvT1_T0_T2_T3_
	.p2align	8
	.type	_ZN4RAJA6policy3hip4impl18forallp_hip_kernelINS1_8hip_execINS_17iteration_mapping6DirectENS_3hip11IndexGlobalILNS_9named_dimE0ELi256ELi0EEENS7_40AvoidDeviceMaxThreadOccupancyConcretizerINS7_34FractionOffsetOccupancyConcretizerINS_8FractionImLm1ELm1EEELln1EEEEELb1EEENS_9Iterators16numeric_iteratorIllPlEEZN8rajaperf4apps5VOL3D17runHipVariantImplILm256EEEvNSM_9VariantIDEEUllE_lNS_4expt15ForallParamPackIJEEES6_SA_TnNSt9enable_ifIXaasr3std10is_base_ofINS5_10DirectBaseET4_EE5valuegtsrT5_10block_sizeLi0EEmE4typeELm256EEEvT1_T0_T2_T3_,@function
_ZN4RAJA6policy3hip4impl18forallp_hip_kernelINS1_8hip_execINS_17iteration_mapping6DirectENS_3hip11IndexGlobalILNS_9named_dimE0ELi256ELi0EEENS7_40AvoidDeviceMaxThreadOccupancyConcretizerINS7_34FractionOffsetOccupancyConcretizerINS_8FractionImLm1ELm1EEELln1EEEEELb1EEENS_9Iterators16numeric_iteratorIllPlEEZN8rajaperf4apps5VOL3D17runHipVariantImplILm256EEEvNSM_9VariantIDEEUllE_lNS_4expt15ForallParamPackIJEEES6_SA_TnNSt9enable_ifIXaasr3std10is_base_ofINS5_10DirectBaseET4_EE5valuegtsrT5_10block_sizeLi0EEmE4typeELm256EEEvT1_T0_T2_T3_: ; @_ZN4RAJA6policy3hip4impl18forallp_hip_kernelINS1_8hip_execINS_17iteration_mapping6DirectENS_3hip11IndexGlobalILNS_9named_dimE0ELi256ELi0EEENS7_40AvoidDeviceMaxThreadOccupancyConcretizerINS7_34FractionOffsetOccupancyConcretizerINS_8FractionImLm1ELm1EEELln1EEEEELb1EEENS_9Iterators16numeric_iteratorIllPlEEZN8rajaperf4apps5VOL3D17runHipVariantImplILm256EEEvNSM_9VariantIDEEUllE_lNS_4expt15ForallParamPackIJEEES6_SA_TnNSt9enable_ifIXaasr3std10is_base_ofINS5_10DirectBaseET4_EE5valuegtsrT5_10block_sizeLi0EEmE4typeELm256EEEvT1_T0_T2_T3_
; %bb.0:
	s_load_b128 s[20:23], s[0:1], 0xd0
	s_mov_b32 s2, s15
	s_mov_b32 s3, 0
	s_delay_alu instid0(SALU_CYCLE_1) | instskip(NEXT) | instid1(SALU_CYCLE_1)
	s_lshl_b64 s[2:3], s[2:3], 8
	v_or_b32_e32 v0, s2, v0
	v_mov_b32_e32 v1, s3
	s_mov_b32 s2, exec_lo
	s_waitcnt lgkmcnt(0)
	s_delay_alu instid0(VALU_DEP_1)
	v_cmpx_gt_i64_e64 s[22:23], v[0:1]
	s_cbranch_execz .LBB1_2
; %bb.1:
	s_load_b512 s[4:19], s[0:1], 0x0
	v_add_co_u32 v0, vcc_lo, v0, s20
	v_add_co_ci_u32_e32 v1, vcc_lo, s21, v1, vcc_lo
	s_clause 0x2
	s_load_b512 s[36:51], s[0:1], 0x80
	s_load_b512 s[52:67], s[0:1], 0x40
	s_load_b128 s[0:3], s[0:1], 0xc0
	v_lshlrev_b64 v[0:1], 3, v[0:1]
	s_waitcnt lgkmcnt(0)
	s_delay_alu instid0(VALU_DEP_1) | instskip(NEXT) | instid1(VALU_DEP_2)
	v_add_co_u32 v2, vcc_lo, s4, v0
	v_add_co_ci_u32_e32 v3, vcc_lo, s5, v1, vcc_lo
	v_add_co_u32 v4, vcc_lo, s6, v0
	v_add_co_ci_u32_e32 v5, vcc_lo, s7, v1, vcc_lo
	;; [unrolled: 2-line block ×13, first 2 shown]
	global_load_b64 v[2:3], v[2:3], off
	global_load_b64 v[4:5], v[4:5], off
	;; [unrolled: 1-line block ×10, first 2 shown]
	v_add_co_u32 v28, vcc_lo, s60, v0
	v_add_co_ci_u32_e32 v29, vcc_lo, s61, v1, vcc_lo
	v_add_co_u32 v30, vcc_lo, s62, v0
	v_add_co_ci_u32_e32 v31, vcc_lo, s63, v1, vcc_lo
	;; [unrolled: 2-line block ×8, first 2 shown]
	global_load_b64 v[16:17], v[16:17], off
	global_load_b64 v[18:19], v[18:19], off
	;; [unrolled: 1-line block ×11, first 2 shown]
	v_add_co_u32 v44, vcc_lo, s16, v0
	v_add_co_ci_u32_e32 v45, vcc_lo, s17, v1, vcc_lo
	v_add_co_u32 v46, vcc_lo, s58, v0
	v_add_co_ci_u32_e32 v47, vcc_lo, s59, v1, vcc_lo
	v_add_co_u32 v48, vcc_lo, s38, v0
	v_add_co_ci_u32_e32 v49, vcc_lo, s39, v1, vcc_lo
	global_load_b64 v[44:45], v[44:45], off
	global_load_b64 v[46:47], v[46:47], off
	;; [unrolled: 1-line block ×3, first 2 shown]
	v_add_co_u32 v0, vcc_lo, s0, v0
	v_add_co_ci_u32_e32 v1, vcc_lo, s1, v1, vcc_lo
	s_waitcnt vmcnt(21)
	v_add_f64 v[6:7], v[2:3], -v[6:7]
	s_waitcnt vmcnt(20)
	v_add_f64 v[8:9], v[2:3], -v[8:9]
	;; [unrolled: 2-line block ×4, first 2 shown]
	v_add_f64 v[2:3], v[2:3], -v[4:5]
	v_add_f64 v[4:5], v[10:11], -v[12:13]
	;; [unrolled: 1-line block ×3, first 2 shown]
	s_waitcnt vmcnt(12)
	v_add_f64 v[14:15], v[16:17], -v[18:19]
	s_waitcnt vmcnt(11)
	v_add_f64 v[18:19], v[16:17], -v[20:21]
	;; [unrolled: 2-line block ×7, first 2 shown]
	v_mul_f64 v[38:39], v[6:7], v[22:23]
	v_mul_f64 v[40:41], v[8:9], v[26:27]
	s_waitcnt vmcnt(3)
	v_add_f64 v[24:25], v[42:43], -v[24:25]
	v_add_f64 v[52:53], v[2:3], v[10:11]
	s_waitcnt vmcnt(2)
	v_add_f64 v[12:13], v[44:45], -v[12:13]
	s_waitcnt vmcnt(1)
	v_add_f64 v[16:17], v[16:17], -v[46:47]
	;; [unrolled: 2-line block ×3, first 2 shown]
	v_mul_f64 v[54:55], v[4:5], v[18:19]
	v_add_f64 v[42:43], v[14:15], v[28:29]
	v_mul_f64 v[44:45], v[20:21], v[32:33]
	v_add_f64 v[46:47], v[18:19], v[30:31]
	v_mul_f64 v[48:49], v[28:29], v[36:37]
	v_fma_f64 v[38:39], v[4:5], v[32:33], -v[38:39]
	v_fma_f64 v[40:41], v[10:11], v[36:37], -v[40:41]
	v_mul_f64 v[50:51], v[2:3], v[24:25]
	v_add_f64 v[32:33], v[32:33], v[24:25]
	v_add_f64 v[4:5], v[8:9], v[4:5]
	v_add_f64 v[56:57], v[6:7], v[12:13]
	v_mul_f64 v[10:11], v[10:11], v[16:17]
	v_add_f64 v[58:59], v[16:17], v[20:21]
	v_mul_f64 v[60:61], v[30:31], v[34:35]
	v_fma_f64 v[6:7], v[6:7], v[20:21], -v[54:55]
	v_add_f64 v[20:21], v[36:37], v[22:23]
	v_fma_f64 v[18:19], v[18:19], v[22:23], -v[44:45]
	v_fma_f64 v[16:17], v[16:17], v[26:27], -v[48:49]
	v_mul_f64 v[38:39], v[42:43], v[38:39]
	v_mul_f64 v[40:41], v[46:47], v[40:41]
	v_fma_f64 v[42:43], v[12:13], v[34:35], -v[50:51]
	v_add_f64 v[26:27], v[34:35], v[26:27]
	v_mul_f64 v[12:13], v[12:13], v[14:15]
	v_fma_f64 v[8:9], v[8:9], v[28:29], -v[10:11]
	v_fma_f64 v[10:11], v[14:15], v[24:25], -v[60:61]
	v_fma_f64 v[14:15], v[52:53], v[18:19], v[38:39]
	v_fma_f64 v[16:17], v[56:57], v[16:17], v[40:41]
	v_mul_f64 v[18:19], v[58:59], v[42:43]
	v_fma_f64 v[2:3], v[2:3], v[30:31], -v[12:13]
	s_delay_alu instid0(VALU_DEP_4) | instskip(NEXT) | instid1(VALU_DEP_4)
	v_fma_f64 v[6:7], v[6:7], v[26:27], v[14:15]
	v_fma_f64 v[8:9], v[8:9], v[32:33], v[16:17]
	s_delay_alu instid0(VALU_DEP_4) | instskip(NEXT) | instid1(VALU_DEP_2)
	v_fma_f64 v[4:5], v[4:5], v[10:11], v[18:19]
	v_add_f64 v[6:7], v[6:7], v[8:9]
	s_delay_alu instid0(VALU_DEP_2) | instskip(NEXT) | instid1(VALU_DEP_1)
	v_fma_f64 v[2:3], v[2:3], v[20:21], v[4:5]
	v_add_f64 v[2:3], v[2:3], v[6:7]
	s_delay_alu instid0(VALU_DEP_1)
	v_mul_f64 v[2:3], s[2:3], v[2:3]
	global_store_b64 v[0:1], v[2:3], off
.LBB1_2:
	s_nop 0
	s_sendmsg sendmsg(MSG_DEALLOC_VGPRS)
	s_endpgm
	.section	.rodata,"a",@progbits
	.p2align	6, 0x0
	.amdhsa_kernel _ZN4RAJA6policy3hip4impl18forallp_hip_kernelINS1_8hip_execINS_17iteration_mapping6DirectENS_3hip11IndexGlobalILNS_9named_dimE0ELi256ELi0EEENS7_40AvoidDeviceMaxThreadOccupancyConcretizerINS7_34FractionOffsetOccupancyConcretizerINS_8FractionImLm1ELm1EEELln1EEEEELb1EEENS_9Iterators16numeric_iteratorIllPlEEZN8rajaperf4apps5VOL3D17runHipVariantImplILm256EEEvNSM_9VariantIDEEUllE_lNS_4expt15ForallParamPackIJEEES6_SA_TnNSt9enable_ifIXaasr3std10is_base_ofINS5_10DirectBaseET4_EE5valuegtsrT5_10block_sizeLi0EEmE4typeELm256EEEvT1_T0_T2_T3_
		.amdhsa_group_segment_fixed_size 0
		.amdhsa_private_segment_fixed_size 0
		.amdhsa_kernarg_size 228
		.amdhsa_user_sgpr_count 15
		.amdhsa_user_sgpr_dispatch_ptr 0
		.amdhsa_user_sgpr_queue_ptr 0
		.amdhsa_user_sgpr_kernarg_segment_ptr 1
		.amdhsa_user_sgpr_dispatch_id 0
		.amdhsa_user_sgpr_private_segment_size 0
		.amdhsa_wavefront_size32 1
		.amdhsa_uses_dynamic_stack 0
		.amdhsa_enable_private_segment 0
		.amdhsa_system_sgpr_workgroup_id_x 1
		.amdhsa_system_sgpr_workgroup_id_y 0
		.amdhsa_system_sgpr_workgroup_id_z 0
		.amdhsa_system_sgpr_workgroup_info 0
		.amdhsa_system_vgpr_workitem_id 0
		.amdhsa_next_free_vgpr 62
		.amdhsa_next_free_sgpr 68
		.amdhsa_reserve_vcc 1
		.amdhsa_float_round_mode_32 0
		.amdhsa_float_round_mode_16_64 0
		.amdhsa_float_denorm_mode_32 3
		.amdhsa_float_denorm_mode_16_64 3
		.amdhsa_dx10_clamp 1
		.amdhsa_ieee_mode 1
		.amdhsa_fp16_overflow 0
		.amdhsa_workgroup_processor_mode 1
		.amdhsa_memory_ordered 1
		.amdhsa_forward_progress 0
		.amdhsa_shared_vgpr_count 0
		.amdhsa_exception_fp_ieee_invalid_op 0
		.amdhsa_exception_fp_denorm_src 0
		.amdhsa_exception_fp_ieee_div_zero 0
		.amdhsa_exception_fp_ieee_overflow 0
		.amdhsa_exception_fp_ieee_underflow 0
		.amdhsa_exception_fp_ieee_inexact 0
		.amdhsa_exception_int_div_zero 0
	.end_amdhsa_kernel
	.section	.text._ZN4RAJA6policy3hip4impl18forallp_hip_kernelINS1_8hip_execINS_17iteration_mapping6DirectENS_3hip11IndexGlobalILNS_9named_dimE0ELi256ELi0EEENS7_40AvoidDeviceMaxThreadOccupancyConcretizerINS7_34FractionOffsetOccupancyConcretizerINS_8FractionImLm1ELm1EEELln1EEEEELb1EEENS_9Iterators16numeric_iteratorIllPlEEZN8rajaperf4apps5VOL3D17runHipVariantImplILm256EEEvNSM_9VariantIDEEUllE_lNS_4expt15ForallParamPackIJEEES6_SA_TnNSt9enable_ifIXaasr3std10is_base_ofINS5_10DirectBaseET4_EE5valuegtsrT5_10block_sizeLi0EEmE4typeELm256EEEvT1_T0_T2_T3_,"axG",@progbits,_ZN4RAJA6policy3hip4impl18forallp_hip_kernelINS1_8hip_execINS_17iteration_mapping6DirectENS_3hip11IndexGlobalILNS_9named_dimE0ELi256ELi0EEENS7_40AvoidDeviceMaxThreadOccupancyConcretizerINS7_34FractionOffsetOccupancyConcretizerINS_8FractionImLm1ELm1EEELln1EEEEELb1EEENS_9Iterators16numeric_iteratorIllPlEEZN8rajaperf4apps5VOL3D17runHipVariantImplILm256EEEvNSM_9VariantIDEEUllE_lNS_4expt15ForallParamPackIJEEES6_SA_TnNSt9enable_ifIXaasr3std10is_base_ofINS5_10DirectBaseET4_EE5valuegtsrT5_10block_sizeLi0EEmE4typeELm256EEEvT1_T0_T2_T3_,comdat
.Lfunc_end1:
	.size	_ZN4RAJA6policy3hip4impl18forallp_hip_kernelINS1_8hip_execINS_17iteration_mapping6DirectENS_3hip11IndexGlobalILNS_9named_dimE0ELi256ELi0EEENS7_40AvoidDeviceMaxThreadOccupancyConcretizerINS7_34FractionOffsetOccupancyConcretizerINS_8FractionImLm1ELm1EEELln1EEEEELb1EEENS_9Iterators16numeric_iteratorIllPlEEZN8rajaperf4apps5VOL3D17runHipVariantImplILm256EEEvNSM_9VariantIDEEUllE_lNS_4expt15ForallParamPackIJEEES6_SA_TnNSt9enable_ifIXaasr3std10is_base_ofINS5_10DirectBaseET4_EE5valuegtsrT5_10block_sizeLi0EEmE4typeELm256EEEvT1_T0_T2_T3_, .Lfunc_end1-_ZN4RAJA6policy3hip4impl18forallp_hip_kernelINS1_8hip_execINS_17iteration_mapping6DirectENS_3hip11IndexGlobalILNS_9named_dimE0ELi256ELi0EEENS7_40AvoidDeviceMaxThreadOccupancyConcretizerINS7_34FractionOffsetOccupancyConcretizerINS_8FractionImLm1ELm1EEELln1EEEEELb1EEENS_9Iterators16numeric_iteratorIllPlEEZN8rajaperf4apps5VOL3D17runHipVariantImplILm256EEEvNSM_9VariantIDEEUllE_lNS_4expt15ForallParamPackIJEEES6_SA_TnNSt9enable_ifIXaasr3std10is_base_ofINS5_10DirectBaseET4_EE5valuegtsrT5_10block_sizeLi0EEmE4typeELm256EEEvT1_T0_T2_T3_
                                        ; -- End function
	.section	.AMDGPU.csdata,"",@progbits
; Kernel info:
; codeLenInByte = 1164
; NumSgprs: 70
; NumVgprs: 62
; ScratchSize: 0
; MemoryBound: 0
; FloatMode: 240
; IeeeMode: 1
; LDSByteSize: 0 bytes/workgroup (compile time only)
; SGPRBlocks: 8
; VGPRBlocks: 7
; NumSGPRsForWavesPerEU: 70
; NumVGPRsForWavesPerEU: 62
; Occupancy: 16
; WaveLimiterHint : 0
; COMPUTE_PGM_RSRC2:SCRATCH_EN: 0
; COMPUTE_PGM_RSRC2:USER_SGPR: 15
; COMPUTE_PGM_RSRC2:TRAP_HANDLER: 0
; COMPUTE_PGM_RSRC2:TGID_X_EN: 1
; COMPUTE_PGM_RSRC2:TGID_Y_EN: 0
; COMPUTE_PGM_RSRC2:TGID_Z_EN: 0
; COMPUTE_PGM_RSRC2:TIDIG_COMP_CNT: 0
	.text
	.p2alignl 7, 3214868480
	.fill 96, 4, 3214868480
	.type	__hip_cuid_30fb0f8e0e69c74f,@object ; @__hip_cuid_30fb0f8e0e69c74f
	.section	.bss,"aw",@nobits
	.globl	__hip_cuid_30fb0f8e0e69c74f
__hip_cuid_30fb0f8e0e69c74f:
	.byte	0                               ; 0x0
	.size	__hip_cuid_30fb0f8e0e69c74f, 1

	.ident	"AMD clang version 19.0.0git (https://github.com/RadeonOpenCompute/llvm-project roc-6.4.0 25133 c7fe45cf4b819c5991fe208aaa96edf142730f1d)"
	.section	".note.GNU-stack","",@progbits
	.addrsig
	.addrsig_sym __hip_cuid_30fb0f8e0e69c74f
	.amdgpu_metadata
---
amdhsa.kernels:
  - .args:
      - .address_space:  global
        .offset:         0
        .size:           8
        .value_kind:     global_buffer
      - .address_space:  global
        .offset:         8
        .size:           8
        .value_kind:     global_buffer
      - .address_space:  global
        .offset:         16
        .size:           8
        .value_kind:     global_buffer
      - .address_space:  global
        .offset:         24
        .size:           8
        .value_kind:     global_buffer
      - .address_space:  global
        .offset:         32
        .size:           8
        .value_kind:     global_buffer
      - .address_space:  global
        .offset:         40
        .size:           8
        .value_kind:     global_buffer
      - .address_space:  global
        .offset:         48
        .size:           8
        .value_kind:     global_buffer
      - .address_space:  global
        .offset:         56
        .size:           8
        .value_kind:     global_buffer
      - .address_space:  global
        .offset:         64
        .size:           8
        .value_kind:     global_buffer
      - .address_space:  global
        .offset:         72
        .size:           8
        .value_kind:     global_buffer
      - .address_space:  global
        .offset:         80
        .size:           8
        .value_kind:     global_buffer
      - .address_space:  global
        .offset:         88
        .size:           8
        .value_kind:     global_buffer
      - .address_space:  global
        .offset:         96
        .size:           8
        .value_kind:     global_buffer
      - .address_space:  global
        .offset:         104
        .size:           8
        .value_kind:     global_buffer
      - .address_space:  global
        .offset:         112
        .size:           8
        .value_kind:     global_buffer
      - .address_space:  global
        .offset:         120
        .size:           8
        .value_kind:     global_buffer
      - .address_space:  global
        .offset:         128
        .size:           8
        .value_kind:     global_buffer
      - .address_space:  global
        .offset:         136
        .size:           8
        .value_kind:     global_buffer
      - .address_space:  global
        .offset:         144
        .size:           8
        .value_kind:     global_buffer
      - .address_space:  global
        .offset:         152
        .size:           8
        .value_kind:     global_buffer
      - .address_space:  global
        .offset:         160
        .size:           8
        .value_kind:     global_buffer
      - .address_space:  global
        .offset:         168
        .size:           8
        .value_kind:     global_buffer
      - .address_space:  global
        .offset:         176
        .size:           8
        .value_kind:     global_buffer
      - .address_space:  global
        .offset:         184
        .size:           8
        .value_kind:     global_buffer
      - .address_space:  global
        .offset:         192
        .size:           8
        .value_kind:     global_buffer
      - .offset:         200
        .size:           8
        .value_kind:     by_value
      - .offset:         208
        .size:           8
        .value_kind:     by_value
      - .offset:         216
        .size:           8
        .value_kind:     by_value
    .group_segment_fixed_size: 0
    .kernarg_segment_align: 8
    .kernarg_segment_size: 224
    .language:       OpenCL C
    .language_version:
      - 2
      - 0
    .max_flat_workgroup_size: 256
    .name:           _ZN8rajaperf4apps5vol3dILm256EEEvPdS2_S2_S2_S2_S2_S2_S2_S2_S2_S2_S2_S2_S2_S2_S2_S2_S2_S2_S2_S2_S2_S2_S2_S2_dll
    .private_segment_fixed_size: 0
    .sgpr_count:     70
    .sgpr_spill_count: 0
    .symbol:         _ZN8rajaperf4apps5vol3dILm256EEEvPdS2_S2_S2_S2_S2_S2_S2_S2_S2_S2_S2_S2_S2_S2_S2_S2_S2_S2_S2_S2_S2_S2_S2_S2_dll.kd
    .uniform_work_group_size: 1
    .uses_dynamic_stack: false
    .vgpr_count:     62
    .vgpr_spill_count: 0
    .wavefront_size: 32
    .workgroup_processor_mode: 1
  - .args:
      - .offset:         0
        .size:           208
        .value_kind:     by_value
      - .offset:         208
        .size:           8
        .value_kind:     by_value
      - .offset:         216
        .size:           8
        .value_kind:     by_value
      - .offset:         224
        .size:           1
        .value_kind:     by_value
    .group_segment_fixed_size: 0
    .kernarg_segment_align: 8
    .kernarg_segment_size: 228
    .language:       OpenCL C
    .language_version:
      - 2
      - 0
    .max_flat_workgroup_size: 256
    .name:           _ZN4RAJA6policy3hip4impl18forallp_hip_kernelINS1_8hip_execINS_17iteration_mapping6DirectENS_3hip11IndexGlobalILNS_9named_dimE0ELi256ELi0EEENS7_40AvoidDeviceMaxThreadOccupancyConcretizerINS7_34FractionOffsetOccupancyConcretizerINS_8FractionImLm1ELm1EEELln1EEEEELb1EEENS_9Iterators16numeric_iteratorIllPlEEZN8rajaperf4apps5VOL3D17runHipVariantImplILm256EEEvNSM_9VariantIDEEUllE_lNS_4expt15ForallParamPackIJEEES6_SA_TnNSt9enable_ifIXaasr3std10is_base_ofINS5_10DirectBaseET4_EE5valuegtsrT5_10block_sizeLi0EEmE4typeELm256EEEvT1_T0_T2_T3_
    .private_segment_fixed_size: 0
    .sgpr_count:     70
    .sgpr_spill_count: 0
    .symbol:         _ZN4RAJA6policy3hip4impl18forallp_hip_kernelINS1_8hip_execINS_17iteration_mapping6DirectENS_3hip11IndexGlobalILNS_9named_dimE0ELi256ELi0EEENS7_40AvoidDeviceMaxThreadOccupancyConcretizerINS7_34FractionOffsetOccupancyConcretizerINS_8FractionImLm1ELm1EEELln1EEEEELb1EEENS_9Iterators16numeric_iteratorIllPlEEZN8rajaperf4apps5VOL3D17runHipVariantImplILm256EEEvNSM_9VariantIDEEUllE_lNS_4expt15ForallParamPackIJEEES6_SA_TnNSt9enable_ifIXaasr3std10is_base_ofINS5_10DirectBaseET4_EE5valuegtsrT5_10block_sizeLi0EEmE4typeELm256EEEvT1_T0_T2_T3_.kd
    .uniform_work_group_size: 1
    .uses_dynamic_stack: false
    .vgpr_count:     62
    .vgpr_spill_count: 0
    .wavefront_size: 32
    .workgroup_processor_mode: 1
amdhsa.target:   amdgcn-amd-amdhsa--gfx1100
amdhsa.version:
  - 1
  - 2
...

	.end_amdgpu_metadata
